;; amdgpu-corpus repo=tuanlda78202/gpt-oss-amd kind=compiled arch=gfx90a opt=O3
	.text
	.amdgcn_target "amdgcn-amd-amdhsa--gfx90a"
	.amdhsa_code_object_version 6
	.protected	_Z11topk_kernelPfS_Piiii ; -- Begin function _Z11topk_kernelPfS_Piiii
	.globl	_Z11topk_kernelPfS_Piiii
	.p2align	8
	.type	_Z11topk_kernelPfS_Piiii,@function
_Z11topk_kernelPfS_Piiii:               ; @_Z11topk_kernelPfS_Piiii
; %bb.0:
	s_load_dwordx4 s[8:11], s[4:5], 0x18
	s_waitcnt lgkmcnt(0)
	s_cmp_ge_i32 s6, s8
	s_cbranch_scc1 .LBB0_24
; %bb.1:
	s_load_dwordx4 s[0:3], s[4:5], 0x0
	s_load_dwordx2 s[12:13], s[4:5], 0x10
	v_cmp_gt_i32_e32 vcc, s9, v0
	v_mov_b32_e32 v2, 0xff7ff023
	v_mov_b32_e32 v3, -1
	v_lshlrev_b32_e32 v1, 2, v0
	s_and_saveexec_b64 s[4:5], vcc
	s_cbranch_execz .LBB0_3
; %bb.2:
	s_mul_i32 s14, s6, s9
	s_ashr_i32 s15, s14, 31
	s_lshl_b64 s[14:15], s[14:15], 2
	s_waitcnt lgkmcnt(0)
	s_add_u32 s0, s0, s14
	s_addc_u32 s1, s1, s15
	global_load_dword v2, v1, s[0:1]
	v_mov_b32_e32 v3, v0
.LBB0_3:
	s_or_b64 exec, exec, s[4:5]
	v_cmp_eq_u32_e32 vcc, 0, v0
	s_waitcnt vmcnt(0)
	ds_write2st64_b32 v1, v2, v3 offset1:16
	s_waitcnt lgkmcnt(0)
	s_barrier
	s_and_saveexec_b64 s[0:1], vcc
	s_cbranch_execz .LBB0_22
; %bb.4:
	s_min_i32 s5, s10, s9
	s_cmp_lt_i32 s5, 1
	s_cbranch_scc1 .LBB0_22
; %bb.5:
	s_cmp_eq_u32 s5, 1
	s_mov_b32 s4, 0
	s_cbranch_scc1 .LBB0_16
; %bb.6:
	s_and_b32 s4, s5, 0x7ffffffe
	s_mov_b32 s7, 0
	s_mov_b32 s8, 4
	;; [unrolled: 1-line block ×3, first 2 shown]
	s_branch .LBB0_8
.LBB0_7:                                ;   in Loop: Header=BB0_8 Depth=1
	s_add_i32 s8, s8, 8
	s_add_i32 s11, s11, 8
	s_cmp_lg_u32 s7, s4
	s_cbranch_scc0 .LBB0_16
.LBB0_8:                                ; =>This Loop Header: Depth=1
                                        ;     Child Loop BB0_9 Depth 2
                                        ;     Child Loop BB0_13 Depth 2
	s_lshl_b32 s14, s7, 2
	v_mov_b32_e32 v2, s14
	ds_read_b32 v2, v2
	s_or_b32 s15, s7, 1
	s_cmp_ge_i32 s15, s9
	s_mov_b32 s16, s7
	s_mov_b32 s17, s8
	s_mov_b32 s18, s15
	s_waitcnt lgkmcnt(0)
	v_mov_b32_e32 v3, v2
	s_cbranch_scc1 .LBB0_10
.LBB0_9:                                ;   Parent Loop BB0_8 Depth=1
                                        ; =>  This Inner Loop Header: Depth=2
	v_mov_b32_e32 v4, s17
	ds_read_b32 v4, v4
	s_waitcnt lgkmcnt(0)
	v_cmp_gt_f32_e32 vcc, v4, v3
	s_and_b64 s[20:21], vcc, exec
	s_cselect_b32 s16, s18, s16
	s_add_i32 s18, s18, 1
	s_add_i32 s17, s17, 4
	v_cndmask_b32_e32 v3, v3, v4, vcc
	s_cmp_ge_i32 s18, s9
	s_cbranch_scc0 .LBB0_9
.LBB0_10:                               ;   in Loop: Header=BB0_8 Depth=1
	s_cmp_lg_u32 s16, s7
	s_cbranch_scc0 .LBB0_12
; %bb.11:                               ;   in Loop: Header=BB0_8 Depth=1
	s_lshl_b32 s16, s16, 2
	v_mov_b32_e32 v3, s16
	ds_read2st64_b32 v[4:5], v3 offset1:16
	v_mov_b32_e32 v6, s14
	ds_read_b32 v7, v6 offset:4096
	s_waitcnt lgkmcnt(1)
	ds_write_b32 v6, v4
	ds_write_b32 v6, v5 offset:4096
	s_waitcnt lgkmcnt(2)
	ds_write2st64_b32 v3, v2, v7 offset1:16
.LBB0_12:                               ;   in Loop: Header=BB0_8 Depth=1
	v_mov_b32_e32 v2, s14
	ds_read_b32 v2, v2 offset:4
	s_add_i32 s7, s7, 2
	s_cmp_ge_i32 s7, s9
	s_mov_b32 s16, s15
	s_mov_b32 s17, s11
	s_mov_b32 s18, s7
	s_waitcnt lgkmcnt(0)
	v_mov_b32_e32 v3, v2
	s_cbranch_scc1 .LBB0_14
.LBB0_13:                               ;   Parent Loop BB0_8 Depth=1
                                        ; =>  This Inner Loop Header: Depth=2
	v_mov_b32_e32 v4, s17
	ds_read_b32 v4, v4
	s_waitcnt lgkmcnt(0)
	v_cmp_gt_f32_e32 vcc, v4, v3
	s_and_b64 s[20:21], vcc, exec
	s_cselect_b32 s16, s18, s16
	s_add_i32 s18, s18, 1
	s_add_i32 s17, s17, 4
	v_cndmask_b32_e32 v3, v3, v4, vcc
	s_cmp_lt_i32 s18, s9
	s_cbranch_scc1 .LBB0_13
.LBB0_14:                               ;   in Loop: Header=BB0_8 Depth=1
	s_cmp_eq_u32 s16, s15
	s_cbranch_scc1 .LBB0_7
; %bb.15:                               ;   in Loop: Header=BB0_8 Depth=1
	s_lshl_b32 s15, s16, 2
	v_mov_b32_e32 v3, s15
	ds_read2st64_b32 v[4:5], v3 offset1:16
	v_mov_b32_e32 v6, s14
	ds_read_b32 v7, v6 offset:4100
	s_waitcnt lgkmcnt(1)
	ds_write_b32 v6, v4 offset:4
	ds_write_b32 v6, v5 offset:4100
	s_waitcnt lgkmcnt(2)
	ds_write2st64_b32 v3, v2, v7 offset1:16
	s_branch .LBB0_7
.LBB0_16:
	s_bitcmp0_b32 s5, 0
	s_cbranch_scc1 .LBB0_22
; %bb.17:
	s_lshl_b32 s5, s4, 2
	v_mov_b32_e32 v2, s5
	ds_read_b32 v2, v2
	s_add_i32 s8, s4, 1
	s_cmp_ge_i32 s8, s9
	s_mov_b32 s7, s4
	s_cbranch_scc1 .LBB0_20
; %bb.18:
	s_add_i32 s11, s5, 4
	s_waitcnt lgkmcnt(0)
	v_mov_b32_e32 v3, v2
	s_mov_b32 s7, s4
.LBB0_19:                               ; =>This Inner Loop Header: Depth=1
	v_mov_b32_e32 v4, s11
	ds_read_b32 v4, v4
	s_waitcnt lgkmcnt(0)
	v_cmp_gt_f32_e32 vcc, v4, v3
	s_and_b64 s[14:15], vcc, exec
	s_cselect_b32 s7, s8, s7
	s_add_i32 s8, s8, 1
	s_add_i32 s11, s11, 4
	v_cndmask_b32_e32 v3, v3, v4, vcc
	s_cmp_lt_i32 s8, s9
	s_cbranch_scc1 .LBB0_19
.LBB0_20:
	s_cmp_eq_u32 s7, s4
	s_cbranch_scc1 .LBB0_22
; %bb.21:
	s_lshl_b32 s4, s7, 2
	v_mov_b32_e32 v3, s4
	ds_read2st64_b32 v[4:5], v3 offset1:16
	v_mov_b32_e32 v6, s5
	ds_read_b32 v7, v6 offset:4096
	v_mov_b32_e32 v8, s5
	s_waitcnt lgkmcnt(1)
	ds_write_b32 v8, v4
	ds_write_b32 v6, v5 offset:4096
	s_waitcnt lgkmcnt(2)
	ds_write2st64_b32 v3, v2, v7 offset1:16
.LBB0_22:
	s_or_b64 exec, exec, s[0:1]
	v_cmp_gt_i32_e32 vcc, s10, v0
	s_waitcnt lgkmcnt(0)
	s_barrier
	s_and_saveexec_b64 s[0:1], vcc
	s_cbranch_execz .LBB0_24
; %bb.23:
	v_or_b32_e32 v0, 0x1000, v1
	s_mul_i32 s0, s6, s10
	s_ashr_i32 s1, s0, 31
	ds_read_b32 v2, v1
	ds_read_b32 v0, v0
	s_lshl_b64 s[0:1], s[0:1], 2
	s_add_u32 s2, s2, s0
	s_addc_u32 s3, s3, s1
	s_add_u32 s0, s12, s0
	s_addc_u32 s1, s13, s1
	s_waitcnt lgkmcnt(1)
	global_store_dword v1, v2, s[2:3]
	s_waitcnt lgkmcnt(0)
	global_store_dword v1, v0, s[0:1]
.LBB0_24:
	s_endpgm
	.section	.rodata,"a",@progbits
	.p2align	6, 0x0
	.amdhsa_kernel _Z11topk_kernelPfS_Piiii
		.amdhsa_group_segment_fixed_size 8192
		.amdhsa_private_segment_fixed_size 0
		.amdhsa_kernarg_size 36
		.amdhsa_user_sgpr_count 6
		.amdhsa_user_sgpr_private_segment_buffer 1
		.amdhsa_user_sgpr_dispatch_ptr 0
		.amdhsa_user_sgpr_queue_ptr 0
		.amdhsa_user_sgpr_kernarg_segment_ptr 1
		.amdhsa_user_sgpr_dispatch_id 0
		.amdhsa_user_sgpr_flat_scratch_init 0
		.amdhsa_user_sgpr_kernarg_preload_length 0
		.amdhsa_user_sgpr_kernarg_preload_offset 0
		.amdhsa_user_sgpr_private_segment_size 0
		.amdhsa_uses_dynamic_stack 0
		.amdhsa_system_sgpr_private_segment_wavefront_offset 0
		.amdhsa_system_sgpr_workgroup_id_x 1
		.amdhsa_system_sgpr_workgroup_id_y 0
		.amdhsa_system_sgpr_workgroup_id_z 0
		.amdhsa_system_sgpr_workgroup_info 0
		.amdhsa_system_vgpr_workitem_id 0
		.amdhsa_next_free_vgpr 9
		.amdhsa_next_free_sgpr 22
		.amdhsa_accum_offset 12
		.amdhsa_reserve_vcc 1
		.amdhsa_reserve_flat_scratch 0
		.amdhsa_float_round_mode_32 0
		.amdhsa_float_round_mode_16_64 0
		.amdhsa_float_denorm_mode_32 3
		.amdhsa_float_denorm_mode_16_64 3
		.amdhsa_dx10_clamp 1
		.amdhsa_ieee_mode 1
		.amdhsa_fp16_overflow 0
		.amdhsa_tg_split 0
		.amdhsa_exception_fp_ieee_invalid_op 0
		.amdhsa_exception_fp_denorm_src 0
		.amdhsa_exception_fp_ieee_div_zero 0
		.amdhsa_exception_fp_ieee_overflow 0
		.amdhsa_exception_fp_ieee_underflow 0
		.amdhsa_exception_fp_ieee_inexact 0
		.amdhsa_exception_int_div_zero 0
	.end_amdhsa_kernel
	.text
.Lfunc_end0:
	.size	_Z11topk_kernelPfS_Piiii, .Lfunc_end0-_Z11topk_kernelPfS_Piiii
                                        ; -- End function
	.section	.AMDGPU.csdata,"",@progbits
; Kernel info:
; codeLenInByte = 808
; NumSgprs: 26
; NumVgprs: 9
; NumAgprs: 0
; TotalNumVgprs: 9
; ScratchSize: 0
; MemoryBound: 0
; FloatMode: 240
; IeeeMode: 1
; LDSByteSize: 8192 bytes/workgroup (compile time only)
; SGPRBlocks: 3
; VGPRBlocks: 1
; NumSGPRsForWavesPerEU: 26
; NumVGPRsForWavesPerEU: 9
; AccumOffset: 12
; Occupancy: 8
; WaveLimiterHint : 0
; COMPUTE_PGM_RSRC2:SCRATCH_EN: 0
; COMPUTE_PGM_RSRC2:USER_SGPR: 6
; COMPUTE_PGM_RSRC2:TRAP_HANDLER: 0
; COMPUTE_PGM_RSRC2:TGID_X_EN: 1
; COMPUTE_PGM_RSRC2:TGID_Y_EN: 0
; COMPUTE_PGM_RSRC2:TGID_Z_EN: 0
; COMPUTE_PGM_RSRC2:TIDIG_COMP_CNT: 0
; COMPUTE_PGM_RSRC3_GFX90A:ACCUM_OFFSET: 2
; COMPUTE_PGM_RSRC3_GFX90A:TG_SPLIT: 0
	.text
	.p2alignl 6, 3212836864
	.fill 256, 4, 3212836864
	.type	__hip_cuid_c5dc51df359f04ed,@object ; @__hip_cuid_c5dc51df359f04ed
	.section	.bss,"aw",@nobits
	.globl	__hip_cuid_c5dc51df359f04ed
__hip_cuid_c5dc51df359f04ed:
	.byte	0                               ; 0x0
	.size	__hip_cuid_c5dc51df359f04ed, 1

	.ident	"AMD clang version 19.0.0git (https://github.com/RadeonOpenCompute/llvm-project roc-6.4.0 25133 c7fe45cf4b819c5991fe208aaa96edf142730f1d)"
	.section	".note.GNU-stack","",@progbits
	.addrsig
	.addrsig_sym __hip_cuid_c5dc51df359f04ed
	.amdgpu_metadata
---
amdhsa.kernels:
  - .agpr_count:     0
    .args:
      - .address_space:  global
        .offset:         0
        .size:           8
        .value_kind:     global_buffer
      - .address_space:  global
        .offset:         8
        .size:           8
        .value_kind:     global_buffer
      - .address_space:  global
        .offset:         16
        .size:           8
        .value_kind:     global_buffer
      - .offset:         24
        .size:           4
        .value_kind:     by_value
      - .offset:         28
        .size:           4
        .value_kind:     by_value
      - .offset:         32
        .size:           4
        .value_kind:     by_value
    .group_segment_fixed_size: 8192
    .kernarg_segment_align: 8
    .kernarg_segment_size: 36
    .language:       OpenCL C
    .language_version:
      - 2
      - 0
    .max_flat_workgroup_size: 1024
    .name:           _Z11topk_kernelPfS_Piiii
    .private_segment_fixed_size: 0
    .sgpr_count:     26
    .sgpr_spill_count: 0
    .symbol:         _Z11topk_kernelPfS_Piiii.kd
    .uniform_work_group_size: 1
    .uses_dynamic_stack: false
    .vgpr_count:     9
    .vgpr_spill_count: 0
    .wavefront_size: 64
amdhsa.target:   amdgcn-amd-amdhsa--gfx90a
amdhsa.version:
  - 1
  - 2
...

	.end_amdgpu_metadata
